;; amdgpu-corpus repo=ROCm/rocFFT kind=compiled arch=gfx950 opt=O3
	.text
	.amdgcn_target "amdgcn-amd-amdhsa--gfx950"
	.amdhsa_code_object_version 6
	.protected	fft_rtc_back_len64_factors_4_4_4_wgs_128_tpt_16_dp_op_CI_CI_sbrc_aligned_dirReg ; -- Begin function fft_rtc_back_len64_factors_4_4_4_wgs_128_tpt_16_dp_op_CI_CI_sbrc_aligned_dirReg
	.globl	fft_rtc_back_len64_factors_4_4_4_wgs_128_tpt_16_dp_op_CI_CI_sbrc_aligned_dirReg
	.p2align	8
	.type	fft_rtc_back_len64_factors_4_4_4_wgs_128_tpt_16_dp_op_CI_CI_sbrc_aligned_dirReg,@function
fft_rtc_back_len64_factors_4_4_4_wgs_128_tpt_16_dp_op_CI_CI_sbrc_aligned_dirReg: ; @fft_rtc_back_len64_factors_4_4_4_wgs_128_tpt_16_dp_op_CI_CI_sbrc_aligned_dirReg
; %bb.0:
	s_load_dwordx8 s[4:11], s[0:1], 0x0
	s_mov_b32 s34, 0
	s_mov_b32 s30, 3
	s_mov_b64 s[36:37], 2
	s_mov_b32 s27, s34
	s_waitcnt lgkmcnt(0)
	s_load_dword s3, s[8:9], 0x8
	s_load_dwordx4 s[16:19], s[0:1], 0x58
	s_load_dwordx2 s[28:29], s[0:1], 0x20
	s_load_dwordx4 s[20:23], s[10:11], 0x0
	v_cmp_gt_u64_e64 s[0:1], s[6:7], 2
	s_waitcnt lgkmcnt(0)
	s_add_i32 s3, s3, -1
	s_lshr_b32 s3, s3, 3
	s_add_i32 s33, s3, 1
	v_cvt_f32_u32_e32 v1, s33
	s_load_dwordx4 s[12:15], s[28:29], 0x0
	s_sub_i32 s3, 0, s33
	v_rcp_iflag_f32_e32 v1, v1
	s_nop 0
	v_mul_f32_e32 v1, 0x4f7ffffe, v1
	v_cvt_u32_f32_e32 v1, v1
	s_waitcnt lgkmcnt(0)
	v_readfirstlane_b32 s15, v1
	s_mul_i32 s3, s3, s15
	s_mul_hi_u32 s3, s15, s3
	s_add_i32 s15, s15, s3
	s_mul_hi_u32 s3, s2, s15
	s_mul_i32 s15, s3, s33
	s_sub_i32 s15, s2, s15
	s_add_i32 s23, s3, 1
	s_sub_i32 s24, s15, s33
	s_cmp_ge_u32 s15, s33
	s_cselect_b32 s3, s23, s3
	s_cselect_b32 s15, s24, s15
	s_add_i32 s23, s3, 1
	s_cmp_ge_u32 s15, s33
	s_cselect_b32 s3, s23, s3
	s_mul_i32 s15, s3, s33
	s_sub_i32 s15, s2, s15
	s_lshl_b32 s15, s15, 3
	s_mul_i32 s23, s13, s15
	s_mul_hi_u32 s25, s12, s15
	s_mul_i32 s26, s15, s22
	s_mul_i32 s24, s12, s15
	s_add_i32 s25, s25, s23
	s_and_b64 vcc, exec, s[0:1]
	s_cbranch_vccz .LBB0_9
; %bb.1:
	v_mov_b64_e32 v[2:3], s[6:7]
.LBB0_2:                                ; =>This Inner Loop Header: Depth=1
	s_lshl_b64 s[36:37], s[36:37], 3
	s_add_u32 s0, s8, s36
	s_addc_u32 s1, s9, s37
	s_load_dwordx2 s[38:39], s[0:1], 0x0
	s_waitcnt lgkmcnt(0)
	s_mov_b32 s35, s39
	s_cmp_lg_u64 s[34:35], 0
	s_cbranch_scc0 .LBB0_7
; %bb.3:                                ;   in Loop: Header=BB0_2 Depth=1
	v_cvt_f32_u32_e32 v1, s38
	v_cvt_f32_u32_e32 v4, s39
	s_sub_u32 s0, 0, s38
	s_subb_u32 s1, 0, s39
	v_fmac_f32_e32 v1, 0x4f800000, v4
	v_rcp_f32_e32 v1, v1
	s_nop 0
	v_mul_f32_e32 v1, 0x5f7ffffc, v1
	v_mul_f32_e32 v4, 0x2f800000, v1
	v_trunc_f32_e32 v4, v4
	v_fmac_f32_e32 v1, 0xcf800000, v4
	v_cvt_u32_f32_e32 v4, v4
	v_cvt_u32_f32_e32 v1, v1
	v_readfirstlane_b32 s15, v4
	v_readfirstlane_b32 s23, v1
	s_mul_i32 s31, s0, s15
	s_mul_hi_u32 s40, s0, s23
	s_mul_i32 s35, s1, s23
	s_add_i32 s31, s40, s31
	s_mul_i32 s41, s0, s23
	s_add_i32 s31, s31, s35
	s_mul_hi_u32 s35, s23, s31
	s_mul_i32 s40, s23, s31
	s_mul_hi_u32 s23, s23, s41
	s_add_u32 s23, s23, s40
	s_addc_u32 s35, 0, s35
	s_mul_hi_u32 s42, s15, s41
	s_mul_i32 s41, s15, s41
	s_add_u32 s23, s23, s41
	s_mul_hi_u32 s40, s15, s31
	s_addc_u32 s23, s35, s42
	s_addc_u32 s35, s40, 0
	s_mul_i32 s31, s15, s31
	s_add_u32 s23, s23, s31
	s_addc_u32 s31, 0, s35
	v_add_co_u32_e32 v1, vcc, s23, v1
	s_cmp_lg_u64 vcc, 0
	s_addc_u32 s15, s15, s31
	v_readfirstlane_b32 s31, v1
	s_mul_i32 s23, s0, s15
	s_mul_hi_u32 s35, s0, s31
	s_add_i32 s23, s35, s23
	s_mul_i32 s1, s1, s31
	s_add_i32 s23, s23, s1
	s_mul_i32 s0, s0, s31
	s_mul_hi_u32 s35, s15, s0
	s_mul_i32 s40, s15, s0
	s_mul_i32 s42, s31, s23
	s_mul_hi_u32 s0, s31, s0
	s_mul_hi_u32 s41, s31, s23
	s_add_u32 s0, s0, s42
	s_addc_u32 s31, 0, s41
	s_add_u32 s0, s0, s40
	s_mul_hi_u32 s1, s15, s23
	s_addc_u32 s0, s31, s35
	s_addc_u32 s1, s1, 0
	s_mul_i32 s23, s15, s23
	s_add_u32 s0, s0, s23
	s_addc_u32 s1, 0, s1
	v_add_co_u32_e32 v1, vcc, s0, v1
	s_cmp_lg_u64 vcc, 0
	s_addc_u32 s0, s15, s1
	v_readfirstlane_b32 s15, v1
	s_mul_hi_u32 s1, s3, s0
	s_mul_i32 s0, s3, s0
	s_mul_hi_u32 s15, s3, s15
	s_add_u32 s0, s15, s0
	s_addc_u32 s15, 0, s1
	s_mul_i32 s0, s39, s15
	s_mul_hi_u32 s1, s38, s15
	s_add_i32 s23, s1, s0
	s_mul_i32 s1, s38, s15
	v_mov_b32_e32 v1, s1
	s_sub_i32 s0, 0, s23
	v_sub_co_u32_e32 v1, vcc, s3, v1
	s_cmp_lg_u64 vcc, 0
	s_subb_u32 s31, s0, s39
	v_subrev_co_u32_e64 v4, s[0:1], s38, v1
	s_cmp_lg_u64 s[0:1], 0
	s_subb_u32 s0, s31, 0
	s_cmp_ge_u32 s0, s39
	v_readfirstlane_b32 s31, v4
	s_cselect_b32 s1, -1, 0
	s_cmp_ge_u32 s31, s38
	s_cselect_b32 s31, -1, 0
	s_cmp_eq_u32 s0, s39
	s_cselect_b32 s0, s31, s1
	s_add_u32 s1, s15, 1
	s_addc_u32 s31, 0, 0
	s_add_u32 s35, s15, 2
	s_addc_u32 s40, 0, 0
	s_cmp_lg_u32 s0, 0
	s_cselect_b32 s0, s35, s1
	s_cselect_b32 s1, s40, s31
	s_cmp_lg_u64 vcc, 0
	s_subb_u32 s23, 0, s23
	s_cmp_ge_u32 s23, s39
	v_readfirstlane_b32 s35, v1
	s_cselect_b32 s31, -1, 0
	s_cmp_ge_u32 s35, s38
	s_cselect_b32 s35, -1, 0
	s_cmp_eq_u32 s23, s39
	s_cselect_b32 s23, s35, s31
	s_cmp_lg_u32 s23, 0
	s_cselect_b32 s1, s1, 0
	s_cselect_b32 s0, s0, s15
	s_cbranch_execnz .LBB0_5
.LBB0_4:                                ;   in Loop: Header=BB0_2 Depth=1
	v_cvt_f32_u32_e32 v1, s38
	s_sub_i32 s0, 0, s38
	v_rcp_iflag_f32_e32 v1, v1
	s_nop 0
	v_mul_f32_e32 v1, 0x4f7ffffe, v1
	v_cvt_u32_f32_e32 v1, v1
	s_nop 0
	v_readfirstlane_b32 s1, v1
	s_mul_i32 s0, s0, s1
	s_mul_hi_u32 s0, s1, s0
	s_add_i32 s1, s1, s0
	s_mul_hi_u32 s0, s3, s1
	s_mul_i32 s15, s0, s38
	s_sub_i32 s15, s3, s15
	s_add_i32 s1, s0, 1
	s_sub_i32 s23, s15, s38
	s_cmp_ge_u32 s15, s38
	s_cselect_b32 s0, s1, s0
	s_cselect_b32 s15, s23, s15
	s_add_i32 s1, s0, 1
	s_cmp_ge_u32 s15, s38
	s_cselect_b32 s0, s1, s0
	s_mov_b32 s1, s34
.LBB0_5:                                ;   in Loop: Header=BB0_2 Depth=1
	s_mul_i32 s15, s0, s39
	s_mul_hi_u32 s23, s0, s38
	s_add_i32 s15, s23, s15
	s_mul_i32 s1, s1, s38
	s_add_i32 s15, s15, s1
	s_mul_i32 s1, s0, s38
	s_sub_u32 s1, s3, s1
	s_subb_u32 s3, 0, s15
	s_add_u32 s40, s10, s36
	s_addc_u32 s41, s11, s37
	s_load_dwordx2 s[40:41], s[40:41], 0x0
	s_mov_b32 s31, s34
	v_cmp_ge_u64_e32 vcc, s[30:31], v[2:3]
	s_mul_i32 s33, s33, s38
	s_waitcnt lgkmcnt(0)
	s_mul_i32 s15, s40, s3
	s_mul_hi_u32 s23, s40, s1
	s_add_i32 s15, s23, s15
	s_mul_i32 s23, s41, s1
	s_add_i32 s15, s15, s23
	s_mul_i32 s23, s40, s1
	s_add_u32 s26, s23, s26
	s_addc_u32 s27, s15, s27
	s_add_u32 s36, s28, s36
	s_addc_u32 s37, s29, s37
	s_load_dwordx2 s[36:37], s[36:37], 0x0
	s_waitcnt lgkmcnt(0)
	s_mul_i32 s3, s36, s3
	s_mul_hi_u32 s15, s36, s1
	s_add_i32 s3, s15, s3
	s_mul_i32 s15, s37, s1
	s_add_i32 s3, s3, s15
	s_mul_i32 s1, s36, s1
	s_add_u32 s24, s1, s24
	s_addc_u32 s25, s3, s25
	s_mov_b64 s[36:37], s[30:31]
	s_add_i32 s30, s30, 1
	s_cbranch_vccnz .LBB0_8
; %bb.6:                                ;   in Loop: Header=BB0_2 Depth=1
	s_mov_b32 s3, s0
	s_branch .LBB0_2
.LBB0_7:                                ;   in Loop: Header=BB0_2 Depth=1
                                        ; implicit-def: $sgpr0_sgpr1
	s_branch .LBB0_4
.LBB0_8:
	v_cvt_f32_u32_e32 v1, s33
	s_sub_i32 s0, 0, s33
	v_rcp_iflag_f32_e32 v1, v1
	s_nop 0
	v_mul_f32_e32 v1, 0x4f7ffffe, v1
	v_cvt_u32_f32_e32 v1, v1
	s_nop 0
	v_readfirstlane_b32 s1, v1
	s_mul_i32 s0, s0, s1
	s_mul_hi_u32 s0, s1, s0
	s_add_i32 s1, s1, s0
	s_mul_hi_u32 s0, s2, s1
	s_mul_i32 s1, s0, s33
	s_sub_i32 s1, s2, s1
	s_add_i32 s3, s0, 1
	s_sub_i32 s2, s1, s33
	s_cmp_ge_u32 s1, s33
	s_cselect_b32 s0, s3, s0
	s_cselect_b32 s1, s2, s1
	s_add_i32 s2, s0, 1
	s_cmp_ge_u32 s1, s33
	s_cselect_b32 s3, s2, s0
.LBB0_9:
	s_lshl_b64 s[0:1], s[6:7], 3
	s_add_u32 s6, s10, s0
	s_addc_u32 s7, s11, s1
	s_load_dwordx2 s[6:7], s[6:7], 0x0
	v_and_b32_e32 v24, 63, v0
	v_mad_u64_u32 v[4:5], s[8:9], s20, v24, 0
	v_mov_b32_e32 v2, v5
	s_waitcnt lgkmcnt(0)
	s_mul_i32 s2, s7, s3
	s_mul_hi_u32 s7, s6, s3
	s_add_i32 s7, s7, s2
	s_add_u32 s0, s28, s0
	s_addc_u32 s1, s29, s1
	s_load_dwordx2 s[0:1], s[0:1], 0x0
	s_mul_i32 s6, s6, s3
	s_lshl_b64 s[6:7], s[6:7], 4
	v_mad_u64_u32 v[2:3], s[8:9], s21, v24, v[2:3]
	s_waitcnt lgkmcnt(0)
	s_mul_i32 s1, s1, s3
	s_mul_hi_u32 s2, s0, s3
	s_add_i32 s1, s2, s1
	s_add_u32 s2, s16, s6
	s_addc_u32 s8, s17, s7
	s_lshl_b64 s[6:7], s[26:27], 4
	s_add_u32 s6, s2, s6
	v_lshrrev_b32_e32 v1, 6, v0
	v_mov_b32_e32 v5, v2
	s_addc_u32 s7, s8, s7
	v_mul_lo_u32 v2, v1, s22
	v_mov_b32_e32 v3, 0
	v_lshl_add_u64 v[12:13], v[4:5], 4, s[6:7]
	s_lshl_b32 s2, s22, 1
	v_lshl_add_u64 v[14:15], v[2:3], 4, v[12:13]
	v_add_u32_e32 v2, s2, v2
	v_lshl_add_u64 v[16:17], v[2:3], 4, v[12:13]
	v_add_u32_e32 v2, s2, v2
	;; [unrolled: 2-line block ×3, first 2 shown]
	global_load_dwordx4 v[4:7], v[14:15], off
	global_load_dwordx4 v[8:11], v[16:17], off
	v_lshl_add_u64 v[22:23], v[2:3], 4, v[12:13]
	global_load_dwordx4 v[12:15], v[20:21], off
	global_load_dwordx4 v[16:19], v[22:23], off
	v_and_b32_e32 v36, 7, v0
	v_lshrrev_b32_e32 v37, 3, v0
	v_lshlrev_b32_e32 v20, 7, v24
	v_lshlrev_b32_e32 v1, 4, v1
	;; [unrolled: 1-line block ×4, first 2 shown]
	v_add3_u32 v1, 0, v20, v1
	v_add3_u32 v38, 0, v21, v24
	v_bfe_u32 v2, v0, 3, 2
	v_mul_u32_u24_e32 v22, 3, v2
	s_movk_i32 s2, 0x180
	v_lshlrev_b32_e32 v25, 4, v22
	v_mad_u32_u24 v26, v37, s2, v38
	v_lshrrev_b32_e32 v0, 1, v0
	v_and_or_b32 v0, v0, 48, v2
	v_lshlrev_b32_e32 v0, 7, v0
	v_add3_u32 v39, 0, v0, v24
	s_mul_i32 s0, s0, s3
	s_lshl_b64 s[2:3], s[24:25], 4
	s_add_u32 s2, s18, s2
	s_addc_u32 s3, s19, s3
	s_lshl_b64 s[0:1], s[0:1], 4
	s_add_u32 s0, s0, s2
	s_addc_u32 s1, s1, s3
	s_lshl_b32 s2, s14, 4
	s_waitcnt vmcnt(3)
	ds_write_b128 v1, v[4:7]
	s_waitcnt vmcnt(2)
	ds_write_b128 v1, v[8:11] offset:32
	s_waitcnt vmcnt(1)
	ds_write_b128 v1, v[12:15] offset:64
	;; [unrolled: 2-line block ×3, first 2 shown]
	s_waitcnt lgkmcnt(0)
	s_barrier
	ds_read_b128 v[4:7], v38
	ds_read_b128 v[8:11], v38 offset:2048
	ds_read_b128 v[12:15], v38 offset:4096
	;; [unrolled: 1-line block ×3, first 2 shown]
	s_waitcnt lgkmcnt(0)
	s_barrier
	v_add_f64 v[12:13], v[4:5], -v[12:13]
	v_add_f64 v[14:15], v[6:7], -v[14:15]
	;; [unrolled: 1-line block ×4, first 2 shown]
	v_fma_f64 v[20:21], v[4:5], 2.0, -v[12:13]
	v_fma_f64 v[22:23], v[6:7], 2.0, -v[14:15]
	;; [unrolled: 1-line block ×4, first 2 shown]
	v_add_f64 v[4:5], v[12:13], v[18:19]
	v_add_f64 v[6:7], v[14:15], -v[16:17]
	v_add_f64 v[8:9], v[20:21], -v[8:9]
	;; [unrolled: 1-line block ×3, first 2 shown]
	v_fma_f64 v[12:13], v[12:13], 2.0, -v[4:5]
	v_fma_f64 v[14:15], v[14:15], 2.0, -v[6:7]
	ds_write_b128 v26, v[4:7] offset:384
	v_fma_f64 v[4:5], v[20:21], 2.0, -v[8:9]
	v_fma_f64 v[6:7], v[22:23], 2.0, -v[10:11]
	ds_write_b128 v26, v[12:15] offset:128
	ds_write_b128 v26, v[8:11] offset:256
	ds_write_b128 v26, v[4:7]
	s_waitcnt lgkmcnt(0)
	s_barrier
	global_load_dwordx4 v[4:7], v25, s[4:5]
	global_load_dwordx4 v[8:11], v25, s[4:5] offset:16
	global_load_dwordx4 v[12:15], v25, s[4:5] offset:32
	ds_read_b128 v[16:19], v38
	ds_read_b128 v[20:23], v38 offset:2048
	ds_read_b128 v[24:27], v38 offset:4096
	ds_read_b128 v[28:31], v38 offset:6144
	v_mul_u32_u24_e32 v1, 3, v37
	v_lshlrev_b32_e32 v2, 4, v1
	s_waitcnt lgkmcnt(0)
	s_barrier
	s_waitcnt vmcnt(2)
	v_mul_f64 v[0:1], v[22:23], v[6:7]
	v_mul_f64 v[6:7], v[20:21], v[6:7]
	s_waitcnt vmcnt(1)
	v_mul_f64 v[32:33], v[26:27], v[10:11]
	v_mul_f64 v[10:11], v[24:25], v[10:11]
	;; [unrolled: 3-line block ×3, first 2 shown]
	v_fmac_f64_e32 v[0:1], v[20:21], v[4:5]
	v_fma_f64 v[4:5], v[22:23], v[4:5], -v[6:7]
	v_fmac_f64_e32 v[32:33], v[24:25], v[8:9]
	v_fma_f64 v[6:7], v[26:27], v[8:9], -v[10:11]
	;; [unrolled: 2-line block ×3, first 2 shown]
	v_add_f64 v[12:13], v[16:17], -v[32:33]
	v_add_f64 v[14:15], v[18:19], -v[6:7]
	;; [unrolled: 1-line block ×4, first 2 shown]
	v_fma_f64 v[16:17], v[16:17], 2.0, -v[12:13]
	v_fma_f64 v[18:19], v[18:19], 2.0, -v[14:15]
	;; [unrolled: 1-line block ×4, first 2 shown]
	v_add_f64 v[4:5], v[12:13], v[8:9]
	v_add_f64 v[6:7], v[14:15], -v[6:7]
	v_add_f64 v[8:9], v[16:17], -v[0:1]
	;; [unrolled: 1-line block ×3, first 2 shown]
	v_fma_f64 v[12:13], v[12:13], 2.0, -v[4:5]
	v_fma_f64 v[14:15], v[14:15], 2.0, -v[6:7]
	ds_write_b128 v39, v[4:7] offset:1536
	v_fma_f64 v[4:5], v[16:17], 2.0, -v[8:9]
	v_fma_f64 v[6:7], v[18:19], 2.0, -v[10:11]
	ds_write_b128 v39, v[12:15] offset:512
	ds_write_b128 v39, v[8:11] offset:1024
	ds_write_b128 v39, v[4:7]
	s_waitcnt lgkmcnt(0)
	s_barrier
	global_load_dwordx4 v[4:7], v2, s[4:5] offset:192
	global_load_dwordx4 v[8:11], v2, s[4:5] offset:208
	global_load_dwordx4 v[12:15], v2, s[4:5] offset:224
	v_mad_u64_u32 v[0:1], s[4:5], s12, v36, 0
	v_mov_b32_e32 v2, v1
	v_mad_u64_u32 v[16:17], s[4:5], s13, v36, v[2:3]
	v_mov_b32_e32 v1, v16
	v_mul_lo_u32 v2, v37, s14
	v_lshl_add_u64 v[0:1], v[0:1], 4, s[0:1]
	v_lshl_add_u64 v[28:29], v[2:3], 4, v[0:1]
	v_add_u32_e32 v2, s2, v2
	v_lshl_add_u64 v[30:31], v[2:3], 4, v[0:1]
	v_add_u32_e32 v2, s2, v2
	;; [unrolled: 2-line block ×3, first 2 shown]
	ds_read_b128 v[16:19], v38
	ds_read_b128 v[20:23], v38 offset:2048
	ds_read_b128 v[24:27], v38 offset:4096
	v_lshl_add_u64 v[34:35], v[2:3], 4, v[0:1]
	ds_read_b128 v[0:3], v38 offset:6144
	s_waitcnt vmcnt(2) lgkmcnt(2)
	v_mul_f64 v[36:37], v[22:23], v[6:7]
	v_mul_f64 v[6:7], v[20:21], v[6:7]
	s_waitcnt vmcnt(1) lgkmcnt(1)
	v_mul_f64 v[38:39], v[26:27], v[10:11]
	v_mul_f64 v[10:11], v[24:25], v[10:11]
	;; [unrolled: 3-line block ×3, first 2 shown]
	v_fmac_f64_e32 v[36:37], v[20:21], v[4:5]
	v_fma_f64 v[4:5], v[22:23], v[4:5], -v[6:7]
	v_fmac_f64_e32 v[38:39], v[24:25], v[8:9]
	v_fma_f64 v[6:7], v[26:27], v[8:9], -v[10:11]
	;; [unrolled: 2-line block ×3, first 2 shown]
	v_add_f64 v[8:9], v[16:17], -v[38:39]
	v_add_f64 v[10:11], v[18:19], -v[6:7]
	;; [unrolled: 1-line block ×4, first 2 shown]
	v_fma_f64 v[12:13], v[16:17], 2.0, -v[8:9]
	v_fma_f64 v[14:15], v[18:19], 2.0, -v[10:11]
	;; [unrolled: 1-line block ×4, first 2 shown]
	v_add_f64 v[4:5], v[12:13], -v[6:7]
	v_add_f64 v[6:7], v[14:15], -v[16:17]
	v_add_f64 v[0:1], v[8:9], v[0:1]
	v_add_f64 v[2:3], v[10:11], -v[2:3]
	v_fma_f64 v[12:13], v[12:13], 2.0, -v[4:5]
	v_fma_f64 v[14:15], v[14:15], 2.0, -v[6:7]
	;; [unrolled: 1-line block ×4, first 2 shown]
	global_store_dwordx4 v[28:29], v[12:15], off
	global_store_dwordx4 v[30:31], v[8:11], off
	;; [unrolled: 1-line block ×4, first 2 shown]
	s_endpgm
	.section	.rodata,"a",@progbits
	.p2align	6, 0x0
	.amdhsa_kernel fft_rtc_back_len64_factors_4_4_4_wgs_128_tpt_16_dp_op_CI_CI_sbrc_aligned_dirReg
		.amdhsa_group_segment_fixed_size 0
		.amdhsa_private_segment_fixed_size 0
		.amdhsa_kernarg_size 104
		.amdhsa_user_sgpr_count 2
		.amdhsa_user_sgpr_dispatch_ptr 0
		.amdhsa_user_sgpr_queue_ptr 0
		.amdhsa_user_sgpr_kernarg_segment_ptr 1
		.amdhsa_user_sgpr_dispatch_id 0
		.amdhsa_user_sgpr_kernarg_preload_length 0
		.amdhsa_user_sgpr_kernarg_preload_offset 0
		.amdhsa_user_sgpr_private_segment_size 0
		.amdhsa_uses_dynamic_stack 0
		.amdhsa_enable_private_segment 0
		.amdhsa_system_sgpr_workgroup_id_x 1
		.amdhsa_system_sgpr_workgroup_id_y 0
		.amdhsa_system_sgpr_workgroup_id_z 0
		.amdhsa_system_sgpr_workgroup_info 0
		.amdhsa_system_vgpr_workitem_id 0
		.amdhsa_next_free_vgpr 42
		.amdhsa_next_free_sgpr 43
		.amdhsa_accum_offset 44
		.amdhsa_reserve_vcc 1
		.amdhsa_float_round_mode_32 0
		.amdhsa_float_round_mode_16_64 0
		.amdhsa_float_denorm_mode_32 3
		.amdhsa_float_denorm_mode_16_64 3
		.amdhsa_dx10_clamp 1
		.amdhsa_ieee_mode 1
		.amdhsa_fp16_overflow 0
		.amdhsa_tg_split 0
		.amdhsa_exception_fp_ieee_invalid_op 0
		.amdhsa_exception_fp_denorm_src 0
		.amdhsa_exception_fp_ieee_div_zero 0
		.amdhsa_exception_fp_ieee_overflow 0
		.amdhsa_exception_fp_ieee_underflow 0
		.amdhsa_exception_fp_ieee_inexact 0
		.amdhsa_exception_int_div_zero 0
	.end_amdhsa_kernel
	.text
.Lfunc_end0:
	.size	fft_rtc_back_len64_factors_4_4_4_wgs_128_tpt_16_dp_op_CI_CI_sbrc_aligned_dirReg, .Lfunc_end0-fft_rtc_back_len64_factors_4_4_4_wgs_128_tpt_16_dp_op_CI_CI_sbrc_aligned_dirReg
                                        ; -- End function
	.section	.AMDGPU.csdata,"",@progbits
; Kernel info:
; codeLenInByte = 2424
; NumSgprs: 49
; NumVgprs: 42
; NumAgprs: 0
; TotalNumVgprs: 42
; ScratchSize: 0
; MemoryBound: 0
; FloatMode: 240
; IeeeMode: 1
; LDSByteSize: 0 bytes/workgroup (compile time only)
; SGPRBlocks: 6
; VGPRBlocks: 5
; NumSGPRsForWavesPerEU: 49
; NumVGPRsForWavesPerEU: 42
; AccumOffset: 44
; Occupancy: 8
; WaveLimiterHint : 1
; COMPUTE_PGM_RSRC2:SCRATCH_EN: 0
; COMPUTE_PGM_RSRC2:USER_SGPR: 2
; COMPUTE_PGM_RSRC2:TRAP_HANDLER: 0
; COMPUTE_PGM_RSRC2:TGID_X_EN: 1
; COMPUTE_PGM_RSRC2:TGID_Y_EN: 0
; COMPUTE_PGM_RSRC2:TGID_Z_EN: 0
; COMPUTE_PGM_RSRC2:TIDIG_COMP_CNT: 0
; COMPUTE_PGM_RSRC3_GFX90A:ACCUM_OFFSET: 10
; COMPUTE_PGM_RSRC3_GFX90A:TG_SPLIT: 0
	.text
	.p2alignl 6, 3212836864
	.fill 256, 4, 3212836864
	.type	__hip_cuid_6405968e37734c4c,@object ; @__hip_cuid_6405968e37734c4c
	.section	.bss,"aw",@nobits
	.globl	__hip_cuid_6405968e37734c4c
__hip_cuid_6405968e37734c4c:
	.byte	0                               ; 0x0
	.size	__hip_cuid_6405968e37734c4c, 1

	.ident	"AMD clang version 19.0.0git (https://github.com/RadeonOpenCompute/llvm-project roc-6.4.0 25133 c7fe45cf4b819c5991fe208aaa96edf142730f1d)"
	.section	".note.GNU-stack","",@progbits
	.addrsig
	.addrsig_sym __hip_cuid_6405968e37734c4c
	.amdgpu_metadata
---
amdhsa.kernels:
  - .agpr_count:     0
    .args:
      - .actual_access:  read_only
        .address_space:  global
        .offset:         0
        .size:           8
        .value_kind:     global_buffer
      - .offset:         8
        .size:           8
        .value_kind:     by_value
      - .actual_access:  read_only
        .address_space:  global
        .offset:         16
        .size:           8
        .value_kind:     global_buffer
      - .actual_access:  read_only
        .address_space:  global
        .offset:         24
        .size:           8
        .value_kind:     global_buffer
      - .actual_access:  read_only
        .address_space:  global
        .offset:         32
        .size:           8
        .value_kind:     global_buffer
      - .offset:         40
        .size:           8
        .value_kind:     by_value
      - .actual_access:  read_only
        .address_space:  global
        .offset:         48
        .size:           8
        .value_kind:     global_buffer
      - .actual_access:  read_only
        .address_space:  global
        .offset:         56
        .size:           8
        .value_kind:     global_buffer
      - .offset:         64
        .size:           4
        .value_kind:     by_value
      - .actual_access:  read_only
        .address_space:  global
        .offset:         72
        .size:           8
        .value_kind:     global_buffer
      - .actual_access:  read_only
        .address_space:  global
        .offset:         80
        .size:           8
        .value_kind:     global_buffer
      - .actual_access:  read_only
        .address_space:  global
        .offset:         88
        .size:           8
        .value_kind:     global_buffer
      - .actual_access:  write_only
        .address_space:  global
        .offset:         96
        .size:           8
        .value_kind:     global_buffer
    .group_segment_fixed_size: 0
    .kernarg_segment_align: 8
    .kernarg_segment_size: 104
    .language:       OpenCL C
    .language_version:
      - 2
      - 0
    .max_flat_workgroup_size: 128
    .name:           fft_rtc_back_len64_factors_4_4_4_wgs_128_tpt_16_dp_op_CI_CI_sbrc_aligned_dirReg
    .private_segment_fixed_size: 0
    .sgpr_count:     49
    .sgpr_spill_count: 0
    .symbol:         fft_rtc_back_len64_factors_4_4_4_wgs_128_tpt_16_dp_op_CI_CI_sbrc_aligned_dirReg.kd
    .uniform_work_group_size: 1
    .uses_dynamic_stack: false
    .vgpr_count:     42
    .vgpr_spill_count: 0
    .wavefront_size: 64
amdhsa.target:   amdgcn-amd-amdhsa--gfx950
amdhsa.version:
  - 1
  - 2
...

	.end_amdgpu_metadata
